;; amdgpu-corpus repo=ROCm/rocFFT kind=compiled arch=gfx1201 opt=O3
	.text
	.amdgcn_target "amdgcn-amd-amdhsa--gfx1201"
	.amdhsa_code_object_version 6
	.protected	fft_rtc_back_len1890_factors_2_3_3_3_7_5_wgs_126_tpt_126_halfLds_half_ip_CI_unitstride_sbrr_dirReg ; -- Begin function fft_rtc_back_len1890_factors_2_3_3_3_7_5_wgs_126_tpt_126_halfLds_half_ip_CI_unitstride_sbrr_dirReg
	.globl	fft_rtc_back_len1890_factors_2_3_3_3_7_5_wgs_126_tpt_126_halfLds_half_ip_CI_unitstride_sbrr_dirReg
	.p2align	8
	.type	fft_rtc_back_len1890_factors_2_3_3_3_7_5_wgs_126_tpt_126_halfLds_half_ip_CI_unitstride_sbrr_dirReg,@function
fft_rtc_back_len1890_factors_2_3_3_3_7_5_wgs_126_tpt_126_halfLds_half_ip_CI_unitstride_sbrr_dirReg: ; @fft_rtc_back_len1890_factors_2_3_3_3_7_5_wgs_126_tpt_126_halfLds_half_ip_CI_unitstride_sbrr_dirReg
; %bb.0:
	s_clause 0x2
	s_load_b128 s[4:7], s[0:1], 0x0
	s_load_b64 s[8:9], s[0:1], 0x50
	s_load_b64 s[10:11], s[0:1], 0x18
	v_mul_u32_u24_e32 v1, 0x209, v0
	v_mov_b32_e32 v3, 0
	s_delay_alu instid0(VALU_DEP_2) | instskip(NEXT) | instid1(VALU_DEP_1)
	v_lshrrev_b32_e32 v1, 16, v1
	v_add_nc_u32_e32 v5, ttmp9, v1
	v_mov_b32_e32 v1, 0
	v_mov_b32_e32 v2, 0
	;; [unrolled: 1-line block ×3, first 2 shown]
	s_wait_kmcnt 0x0
	v_cmp_lt_u64_e64 s2, s[6:7], 2
	s_delay_alu instid0(VALU_DEP_1)
	s_and_b32 vcc_lo, exec_lo, s2
	s_cbranch_vccnz .LBB0_8
; %bb.1:
	s_load_b64 s[2:3], s[0:1], 0x10
	v_mov_b32_e32 v1, 0
	v_mov_b32_e32 v2, 0
	s_add_nc_u64 s[12:13], s[10:11], 8
	s_mov_b64 s[14:15], 1
	s_wait_kmcnt 0x0
	s_add_nc_u64 s[16:17], s[2:3], 8
	s_mov_b32 s3, 0
.LBB0_2:                                ; =>This Inner Loop Header: Depth=1
	s_load_b64 s[18:19], s[16:17], 0x0
                                        ; implicit-def: $vgpr7_vgpr8
	s_mov_b32 s2, exec_lo
	s_wait_kmcnt 0x0
	v_or_b32_e32 v4, s19, v6
	s_delay_alu instid0(VALU_DEP_1)
	v_cmpx_ne_u64_e32 0, v[3:4]
	s_wait_alu 0xfffe
	s_xor_b32 s20, exec_lo, s2
	s_cbranch_execz .LBB0_4
; %bb.3:                                ;   in Loop: Header=BB0_2 Depth=1
	s_cvt_f32_u32 s2, s18
	s_cvt_f32_u32 s21, s19
	s_sub_nc_u64 s[24:25], 0, s[18:19]
	s_wait_alu 0xfffe
	s_delay_alu instid0(SALU_CYCLE_1) | instskip(SKIP_1) | instid1(SALU_CYCLE_2)
	s_fmamk_f32 s2, s21, 0x4f800000, s2
	s_wait_alu 0xfffe
	v_s_rcp_f32 s2, s2
	s_delay_alu instid0(TRANS32_DEP_1) | instskip(SKIP_1) | instid1(SALU_CYCLE_2)
	s_mul_f32 s2, s2, 0x5f7ffffc
	s_wait_alu 0xfffe
	s_mul_f32 s21, s2, 0x2f800000
	s_wait_alu 0xfffe
	s_delay_alu instid0(SALU_CYCLE_2) | instskip(SKIP_1) | instid1(SALU_CYCLE_2)
	s_trunc_f32 s21, s21
	s_wait_alu 0xfffe
	s_fmamk_f32 s2, s21, 0xcf800000, s2
	s_cvt_u32_f32 s23, s21
	s_wait_alu 0xfffe
	s_delay_alu instid0(SALU_CYCLE_1) | instskip(SKIP_1) | instid1(SALU_CYCLE_2)
	s_cvt_u32_f32 s22, s2
	s_wait_alu 0xfffe
	s_mul_u64 s[26:27], s[24:25], s[22:23]
	s_wait_alu 0xfffe
	s_mul_hi_u32 s29, s22, s27
	s_mul_i32 s28, s22, s27
	s_mul_hi_u32 s2, s22, s26
	s_mul_i32 s30, s23, s26
	s_wait_alu 0xfffe
	s_add_nc_u64 s[28:29], s[2:3], s[28:29]
	s_mul_hi_u32 s21, s23, s26
	s_mul_hi_u32 s31, s23, s27
	s_add_co_u32 s2, s28, s30
	s_wait_alu 0xfffe
	s_add_co_ci_u32 s2, s29, s21
	s_mul_i32 s26, s23, s27
	s_add_co_ci_u32 s27, s31, 0
	s_wait_alu 0xfffe
	s_add_nc_u64 s[26:27], s[2:3], s[26:27]
	s_wait_alu 0xfffe
	v_add_co_u32 v4, s2, s22, s26
	s_delay_alu instid0(VALU_DEP_1) | instskip(SKIP_1) | instid1(VALU_DEP_1)
	s_cmp_lg_u32 s2, 0
	s_add_co_ci_u32 s23, s23, s27
	v_readfirstlane_b32 s22, v4
	s_wait_alu 0xfffe
	s_delay_alu instid0(VALU_DEP_1)
	s_mul_u64 s[24:25], s[24:25], s[22:23]
	s_wait_alu 0xfffe
	s_mul_hi_u32 s27, s22, s25
	s_mul_i32 s26, s22, s25
	s_mul_hi_u32 s2, s22, s24
	s_mul_i32 s28, s23, s24
	s_wait_alu 0xfffe
	s_add_nc_u64 s[26:27], s[2:3], s[26:27]
	s_mul_hi_u32 s21, s23, s24
	s_mul_hi_u32 s22, s23, s25
	s_wait_alu 0xfffe
	s_add_co_u32 s2, s26, s28
	s_add_co_ci_u32 s2, s27, s21
	s_mul_i32 s24, s23, s25
	s_add_co_ci_u32 s25, s22, 0
	s_wait_alu 0xfffe
	s_add_nc_u64 s[24:25], s[2:3], s[24:25]
	s_wait_alu 0xfffe
	v_add_co_u32 v4, s2, v4, s24
	s_delay_alu instid0(VALU_DEP_1) | instskip(SKIP_1) | instid1(VALU_DEP_1)
	s_cmp_lg_u32 s2, 0
	s_add_co_ci_u32 s2, s23, s25
	v_mul_hi_u32 v13, v5, v4
	s_wait_alu 0xfffe
	v_mad_co_u64_u32 v[7:8], null, v5, s2, 0
	v_mad_co_u64_u32 v[9:10], null, v6, v4, 0
	;; [unrolled: 1-line block ×3, first 2 shown]
	s_delay_alu instid0(VALU_DEP_3) | instskip(SKIP_1) | instid1(VALU_DEP_4)
	v_add_co_u32 v4, vcc_lo, v13, v7
	s_wait_alu 0xfffd
	v_add_co_ci_u32_e32 v7, vcc_lo, 0, v8, vcc_lo
	s_delay_alu instid0(VALU_DEP_2) | instskip(SKIP_1) | instid1(VALU_DEP_2)
	v_add_co_u32 v4, vcc_lo, v4, v9
	s_wait_alu 0xfffd
	v_add_co_ci_u32_e32 v4, vcc_lo, v7, v10, vcc_lo
	s_wait_alu 0xfffd
	v_add_co_ci_u32_e32 v7, vcc_lo, 0, v12, vcc_lo
	s_delay_alu instid0(VALU_DEP_2) | instskip(SKIP_1) | instid1(VALU_DEP_2)
	v_add_co_u32 v4, vcc_lo, v4, v11
	s_wait_alu 0xfffd
	v_add_co_ci_u32_e32 v9, vcc_lo, 0, v7, vcc_lo
	s_delay_alu instid0(VALU_DEP_2) | instskip(SKIP_1) | instid1(VALU_DEP_3)
	v_mul_lo_u32 v10, s19, v4
	v_mad_co_u64_u32 v[7:8], null, s18, v4, 0
	v_mul_lo_u32 v11, s18, v9
	s_delay_alu instid0(VALU_DEP_2) | instskip(NEXT) | instid1(VALU_DEP_2)
	v_sub_co_u32 v7, vcc_lo, v5, v7
	v_add3_u32 v8, v8, v11, v10
	s_delay_alu instid0(VALU_DEP_1) | instskip(SKIP_1) | instid1(VALU_DEP_1)
	v_sub_nc_u32_e32 v10, v6, v8
	s_wait_alu 0xfffd
	v_subrev_co_ci_u32_e64 v10, s2, s19, v10, vcc_lo
	v_add_co_u32 v11, s2, v4, 2
	s_wait_alu 0xf1ff
	v_add_co_ci_u32_e64 v12, s2, 0, v9, s2
	v_sub_co_u32 v13, s2, v7, s18
	v_sub_co_ci_u32_e32 v8, vcc_lo, v6, v8, vcc_lo
	s_wait_alu 0xf1ff
	v_subrev_co_ci_u32_e64 v10, s2, 0, v10, s2
	s_delay_alu instid0(VALU_DEP_3) | instskip(NEXT) | instid1(VALU_DEP_3)
	v_cmp_le_u32_e32 vcc_lo, s18, v13
	v_cmp_eq_u32_e64 s2, s19, v8
	s_wait_alu 0xfffd
	v_cndmask_b32_e64 v13, 0, -1, vcc_lo
	v_cmp_le_u32_e32 vcc_lo, s19, v10
	s_wait_alu 0xfffd
	v_cndmask_b32_e64 v14, 0, -1, vcc_lo
	v_cmp_le_u32_e32 vcc_lo, s18, v7
	;; [unrolled: 3-line block ×3, first 2 shown]
	s_wait_alu 0xfffd
	v_cndmask_b32_e64 v15, 0, -1, vcc_lo
	v_cmp_eq_u32_e32 vcc_lo, s19, v10
	s_wait_alu 0xf1ff
	s_delay_alu instid0(VALU_DEP_2)
	v_cndmask_b32_e64 v7, v15, v7, s2
	s_wait_alu 0xfffd
	v_cndmask_b32_e32 v10, v14, v13, vcc_lo
	v_add_co_u32 v13, vcc_lo, v4, 1
	s_wait_alu 0xfffd
	v_add_co_ci_u32_e32 v14, vcc_lo, 0, v9, vcc_lo
	s_delay_alu instid0(VALU_DEP_3) | instskip(SKIP_2) | instid1(VALU_DEP_3)
	v_cmp_ne_u32_e32 vcc_lo, 0, v10
	s_wait_alu 0xfffd
	v_cndmask_b32_e32 v10, v13, v11, vcc_lo
	v_cndmask_b32_e32 v8, v14, v12, vcc_lo
	v_cmp_ne_u32_e32 vcc_lo, 0, v7
	s_wait_alu 0xfffd
	s_delay_alu instid0(VALU_DEP_2)
	v_dual_cndmask_b32 v7, v4, v10 :: v_dual_cndmask_b32 v8, v9, v8
.LBB0_4:                                ;   in Loop: Header=BB0_2 Depth=1
	s_wait_alu 0xfffe
	s_and_not1_saveexec_b32 s2, s20
	s_cbranch_execz .LBB0_6
; %bb.5:                                ;   in Loop: Header=BB0_2 Depth=1
	v_cvt_f32_u32_e32 v4, s18
	s_sub_co_i32 s20, 0, s18
	s_delay_alu instid0(VALU_DEP_1) | instskip(NEXT) | instid1(TRANS32_DEP_1)
	v_rcp_iflag_f32_e32 v4, v4
	v_mul_f32_e32 v4, 0x4f7ffffe, v4
	s_delay_alu instid0(VALU_DEP_1) | instskip(SKIP_1) | instid1(VALU_DEP_1)
	v_cvt_u32_f32_e32 v4, v4
	s_wait_alu 0xfffe
	v_mul_lo_u32 v7, s20, v4
	s_delay_alu instid0(VALU_DEP_1) | instskip(NEXT) | instid1(VALU_DEP_1)
	v_mul_hi_u32 v7, v4, v7
	v_add_nc_u32_e32 v4, v4, v7
	s_delay_alu instid0(VALU_DEP_1) | instskip(NEXT) | instid1(VALU_DEP_1)
	v_mul_hi_u32 v4, v5, v4
	v_mul_lo_u32 v7, v4, s18
	v_add_nc_u32_e32 v8, 1, v4
	s_delay_alu instid0(VALU_DEP_2) | instskip(NEXT) | instid1(VALU_DEP_1)
	v_sub_nc_u32_e32 v7, v5, v7
	v_subrev_nc_u32_e32 v9, s18, v7
	v_cmp_le_u32_e32 vcc_lo, s18, v7
	s_wait_alu 0xfffd
	s_delay_alu instid0(VALU_DEP_2) | instskip(NEXT) | instid1(VALU_DEP_1)
	v_dual_cndmask_b32 v7, v7, v9 :: v_dual_cndmask_b32 v4, v4, v8
	v_cmp_le_u32_e32 vcc_lo, s18, v7
	s_delay_alu instid0(VALU_DEP_2) | instskip(SKIP_1) | instid1(VALU_DEP_1)
	v_add_nc_u32_e32 v8, 1, v4
	s_wait_alu 0xfffd
	v_dual_cndmask_b32 v7, v4, v8 :: v_dual_mov_b32 v8, v3
.LBB0_6:                                ;   in Loop: Header=BB0_2 Depth=1
	s_wait_alu 0xfffe
	s_or_b32 exec_lo, exec_lo, s2
	s_load_b64 s[20:21], s[12:13], 0x0
	s_delay_alu instid0(VALU_DEP_1)
	v_mul_lo_u32 v4, v8, s18
	v_mul_lo_u32 v11, v7, s19
	v_mad_co_u64_u32 v[9:10], null, v7, s18, 0
	s_add_nc_u64 s[14:15], s[14:15], 1
	s_add_nc_u64 s[12:13], s[12:13], 8
	s_wait_alu 0xfffe
	v_cmp_ge_u64_e64 s2, s[14:15], s[6:7]
	s_add_nc_u64 s[16:17], s[16:17], 8
	s_delay_alu instid0(VALU_DEP_2) | instskip(NEXT) | instid1(VALU_DEP_3)
	v_add3_u32 v4, v10, v11, v4
	v_sub_co_u32 v5, vcc_lo, v5, v9
	s_wait_alu 0xfffd
	s_delay_alu instid0(VALU_DEP_2) | instskip(SKIP_3) | instid1(VALU_DEP_2)
	v_sub_co_ci_u32_e32 v4, vcc_lo, v6, v4, vcc_lo
	s_and_b32 vcc_lo, exec_lo, s2
	s_wait_kmcnt 0x0
	v_mul_lo_u32 v6, s21, v5
	v_mul_lo_u32 v4, s20, v4
	v_mad_co_u64_u32 v[1:2], null, s20, v5, v[1:2]
	s_delay_alu instid0(VALU_DEP_1)
	v_add3_u32 v2, v6, v2, v4
	s_wait_alu 0xfffe
	s_cbranch_vccnz .LBB0_9
; %bb.7:                                ;   in Loop: Header=BB0_2 Depth=1
	v_dual_mov_b32 v5, v7 :: v_dual_mov_b32 v6, v8
	s_branch .LBB0_2
.LBB0_8:
	v_dual_mov_b32 v8, v6 :: v_dual_mov_b32 v7, v5
.LBB0_9:
	s_lshl_b64 s[2:3], s[6:7], 3
	v_mul_hi_u32 v3, 0x2082083, v0
	s_wait_alu 0xfffe
	s_add_nc_u64 s[2:3], s[10:11], s[2:3]
	v_mov_b32_e32 v9, 0
	s_load_b64 s[2:3], s[2:3], 0x0
	s_load_b64 s[0:1], s[0:1], 0x20
                                        ; implicit-def: $vgpr6
                                        ; implicit-def: $vgpr14
                                        ; implicit-def: $vgpr27
                                        ; implicit-def: $vgpr10
                                        ; implicit-def: $vgpr11
                                        ; implicit-def: $vgpr16
                                        ; implicit-def: $vgpr28
                                        ; implicit-def: $vgpr13
                                        ; implicit-def: $vgpr18
                                        ; implicit-def: $vgpr30
                                        ; implicit-def: $vgpr15
                                        ; implicit-def: $vgpr12
                                        ; implicit-def: $vgpr19
                                        ; implicit-def: $vgpr31
                                        ; implicit-def: $vgpr17
                                        ; implicit-def: $vgpr24
                                        ; implicit-def: $vgpr21
                                        ; implicit-def: $vgpr32
                                        ; implicit-def: $vgpr20
                                        ; implicit-def: $vgpr25
                                        ; implicit-def: $vgpr23
                                        ; implicit-def: $vgpr33
                                        ; implicit-def: $vgpr22
                                        ; implicit-def: $vgpr29
                                        ; implicit-def: $vgpr26
                                        ; implicit-def: $vgpr34
                                        ; implicit-def: $vgpr35
	s_delay_alu instid0(VALU_DEP_2) | instskip(NEXT) | instid1(VALU_DEP_1)
	v_mul_u32_u24_e32 v3, 0x7e, v3
	v_sub_nc_u32_e32 v0, v0, v3
	s_wait_kmcnt 0x0
	v_mul_lo_u32 v4, s2, v8
	v_mul_lo_u32 v5, s3, v7
	v_mad_co_u64_u32 v[1:2], null, s2, v7, v[1:2]
	v_cmp_gt_u64_e32 vcc_lo, s[0:1], v[7:8]
                                        ; implicit-def: $vgpr7
                                        ; implicit-def: $vgpr8
	s_delay_alu instid0(VALU_DEP_2) | instskip(NEXT) | instid1(VALU_DEP_1)
	v_add3_u32 v2, v5, v2, v4
                                        ; implicit-def: $vgpr4
	v_lshlrev_b64_e32 v[2:3], 2, v[1:2]
	v_mov_b32_e32 v1, 0
	s_and_saveexec_b32 s1, vcc_lo
	s_cbranch_execz .LBB0_13
; %bb.10:
	v_mov_b32_e32 v1, 0
	s_delay_alu instid0(VALU_DEP_3) | instskip(SKIP_2) | instid1(VALU_DEP_3)
	v_add_co_u32 v6, s0, s8, v2
	s_wait_alu 0xf1ff
	v_add_co_ci_u32_e64 v7, s0, s9, v3, s0
	v_lshlrev_b64_e32 v[4:5], 2, v[0:1]
	v_mov_b32_e32 v9, v1
	s_mov_b32 s2, exec_lo
                                        ; implicit-def: $vgpr35
                                        ; implicit-def: $vgpr8
	s_delay_alu instid0(VALU_DEP_2) | instskip(SKIP_1) | instid1(VALU_DEP_3)
	v_add_co_u32 v4, s0, v6, v4
	s_wait_alu 0xf1ff
	v_add_co_ci_u32_e64 v5, s0, v7, v5, s0
	s_clause 0xd
	global_load_b32 v6, v[4:5], off
	global_load_b32 v11, v[4:5], off offset:504
	global_load_b32 v7, v[4:5], off offset:1008
	;; [unrolled: 1-line block ×13, first 2 shown]
	v_cmpx_gt_u32_e32 63, v0
	s_cbranch_execz .LBB0_12
; %bb.11:
	s_clause 0x1
	global_load_b32 v1, v[4:5], off offset:3528
	global_load_b32 v35, v[4:5], off offset:7308
	s_wait_loadcnt 0x1
	v_lshrrev_b32_e32 v9, 16, v1
	s_wait_loadcnt 0x0
	v_lshrrev_b32_e32 v8, 16, v35
.LBB0_12:
	s_wait_alu 0xfffe
	s_or_b32 exec_lo, exec_lo, s2
	s_wait_loadcnt 0xd
	v_lshrrev_b32_e32 v4, 16, v6
	s_wait_loadcnt 0x7
	v_lshrrev_b32_e32 v14, 16, v27
	v_lshrrev_b32_e32 v10, 16, v11
	s_wait_loadcnt 0x5
	v_lshrrev_b32_e32 v16, 16, v28
	;; [unrolled: 3-line block ×7, first 2 shown]
.LBB0_13:
	s_wait_alu 0xfffe
	s_or_b32 exec_lo, exec_lo, s1
	v_sub_f16_e32 v27, v6, v27
	v_sub_f16_e32 v32, v24, v32
	;; [unrolled: 1-line block ×5, first 2 shown]
	v_fma_f16 v6, v6, 2.0, -v27
	v_sub_f16_e32 v39, v25, v33
	v_fma_f16 v24, v24, 2.0, -v32
	v_fma_f16 v36, v11, 2.0, -v28
	v_sub_f16_e32 v41, v29, v34
	v_fma_f16 v37, v7, 2.0, -v30
	v_fma_f16 v38, v12, 2.0, -v31
	;; [unrolled: 1-line block ×3, first 2 shown]
	v_add_nc_u32_e32 v5, 0x7e, v0
	v_lshl_add_u32 v33, v0, 2, 0
	v_pack_b32_f16 v27, v6, v27
	v_add_nc_u32_e32 v6, 0xfc, v0
	v_add_nc_u32_e32 v11, 0x17a, v0
	;; [unrolled: 1-line block ×3, first 2 shown]
	v_pack_b32_f16 v24, v24, v32
	v_add_nc_u32_e32 v32, 0x372, v0
	v_fma_f16 v29, v29, 2.0, -v41
	v_sub_f16_e32 v7, v1, v35
	v_lshl_add_u32 v34, v5, 2, 0
	v_pack_b32_f16 v28, v36, v28
	v_lshl_add_u32 v35, v6, 2, 0
	v_pack_b32_f16 v30, v37, v30
	;; [unrolled: 2-line block ×3, first 2 shown]
	v_lshl_add_u32 v37, v12, 2, 0
	v_add_nc_u32_e32 v38, 0x9d8, v33
	v_pack_b32_f16 v25, v25, v39
	v_add_nc_u32_e32 v40, 0xbd0, v33
	v_cmp_gt_u32_e64 s0, 63, v0
	v_lshl_add_u32 v39, v32, 2, 0
	v_pack_b32_f16 v29, v29, v41
	v_add_nc_u32_e32 v41, 0x800, v33
	ds_store_b32 v33, v27
	ds_store_b32 v34, v28
	;; [unrolled: 1-line block ×5, first 2 shown]
	ds_store_2addr_b32 v41, v25, v29 offset0:118 offset1:244
	s_and_saveexec_b32 s1, s0
	s_cbranch_execz .LBB0_15
; %bb.14:
	v_fma_f16 v1, v1, 2.0, -v7
	s_delay_alu instid0(VALU_DEP_1)
	v_perm_b32 v1, v7, v1, 0x5040100
	ds_store_b32 v39, v1
.LBB0_15:
	s_wait_alu 0xfffe
	s_or_b32 exec_lo, exec_lo, s1
	v_sub_f16_e32 v1, v4, v14
	v_sub_f16_e32 v18, v13, v18
	;; [unrolled: 1-line block ×5, first 2 shown]
	v_fma_f16 v42, v4, 2.0, -v1
	v_lshl_add_u32 v4, v0, 1, 0
	v_sub_f16_e32 v43, v20, v23
	v_sub_f16_e32 v44, v22, v26
	v_fma_f16 v45, v13, 2.0, -v18
	v_fma_f16 v46, v15, 2.0, -v19
	;; [unrolled: 1-line block ×3, first 2 shown]
	global_wb scope:SCOPE_SE
	s_wait_dscnt 0x0
	s_barrier_signal -1
	s_barrier_wait -1
	global_inv scope:SCOPE_SE
	ds_load_u16 v24, v4 offset:1512
	ds_load_u16 v23, v4 offset:1764
	ds_load_u16 v17, v4
	ds_load_u16 v16, v4 offset:252
	ds_load_u16 v14, v4 offset:504
	;; [unrolled: 1-line block ×12, first 2 shown]
	v_fma_f16 v10, v10, 2.0, -v41
	v_fma_f16 v20, v20, 2.0, -v43
	v_fma_f16 v22, v22, 2.0, -v44
	v_sub_f16_e32 v8, v9, v8
	v_pack_b32_f16 v1, v42, v1
	v_pack_b32_f16 v10, v10, v41
	;; [unrolled: 1-line block ×5, first 2 shown]
	global_wb scope:SCOPE_SE
	s_wait_dscnt 0x0
	s_barrier_signal -1
	s_barrier_wait -1
	global_inv scope:SCOPE_SE
	v_pack_b32_f16 v20, v20, v43
	v_pack_b32_f16 v22, v22, v44
	ds_store_b32 v33, v1
	ds_store_b32 v34, v10
	;; [unrolled: 1-line block ×7, first 2 shown]
	s_and_saveexec_b32 s1, s0
	s_cbranch_execz .LBB0_17
; %bb.16:
	v_fma_f16 v1, v9, 2.0, -v8
	s_delay_alu instid0(VALU_DEP_1)
	v_perm_b32 v1, v8, v1, 0x5040100
	ds_store_b32 v39, v1
.LBB0_17:
	s_wait_alu 0xfffe
	s_or_b32 exec_lo, exec_lo, s1
	v_and_b32_e32 v35, 1, v0
	global_wb scope:SCOPE_SE
	s_wait_dscnt 0x0
	s_barrier_signal -1
	s_barrier_wait -1
	global_inv scope:SCOPE_SE
	v_lshlrev_b32_e32 v1, 3, v35
	v_lshrrev_b32_e32 v46, 1, v0
	v_lshrrev_b32_e32 v47, 1, v5
	;; [unrolled: 1-line block ×4, first 2 shown]
	global_load_b64 v[33:34], v1, s[4:5]
	ds_load_u16 v36, v4 offset:1512
	ds_load_u16 v37, v4 offset:1764
	ds_load_u16 v22, v4
	ds_load_u16 v21, v4 offset:252
	ds_load_u16 v20, v4 offset:504
	;; [unrolled: 1-line block ×12, first 2 shown]
	v_lshrrev_b32_e32 v1, 1, v6
	v_and_b32_e32 v10, 0xff, v0
	v_and_b32_e32 v9, 0xff, v5
	v_and_b32_e32 v50, 0xffff, v6
	v_and_b32_e32 v51, 0xffff, v11
	v_and_b32_e32 v52, 0xffff, v12
	v_mul_u32_u24_e32 v46, 6, v46
	v_mul_u32_u24_e32 v47, 6, v47
	;; [unrolled: 1-line block ×5, first 2 shown]
	v_mul_lo_u16 v54, 0xab, v10
	v_mul_lo_u16 v55, 0xab, v9
	v_mul_u32_u24_e32 v56, 0xaaab, v50
	v_mul_u32_u24_e32 v57, 0xaaab, v51
	;; [unrolled: 1-line block ×3, first 2 shown]
	v_or_b32_e32 v46, v46, v35
	v_or_b32_e32 v47, v47, v35
	;; [unrolled: 1-line block ×5, first 2 shown]
	v_lshrrev_b16 v49, 10, v54
	v_lshrrev_b16 v54, 10, v55
	v_lshrrev_b32_e32 v55, 18, v56
	v_lshrrev_b32_e32 v56, 18, v57
	v_lshrrev_b32_e32 v57, 18, v58
	v_mul_lo_u16 v58, v49, 6
	v_mul_lo_u16 v59, v54, 6
	;; [unrolled: 1-line block ×5, first 2 shown]
	v_sub_nc_u16 v58, v0, v58
	v_sub_nc_u16 v59, v5, v59
	;; [unrolled: 1-line block ×5, first 2 shown]
	v_and_b32_e32 v58, 0xff, v58
	v_and_b32_e32 v59, 0xff, v59
	;; [unrolled: 1-line block ×3, first 2 shown]
	v_lshl_add_u32 v46, v46, 1, 0
	v_and_b32_e32 v61, 0xffff, v61
	v_lshlrev_b32_e32 v64, 3, v58
	v_and_b32_e32 v62, 0xffff, v62
	v_lshl_add_u32 v47, v47, 1, 0
	v_lshlrev_b32_e32 v66, 3, v59
	v_lshlrev_b32_e32 v67, 3, v60
	global_wb scope:SCOPE_SE
	s_wait_loadcnt_dscnt 0x0
	s_barrier_signal -1
	s_barrier_wait -1
	global_inv scope:SCOPE_SE
	v_lshl_add_u32 v53, v53, 1, 0
	v_lshl_add_u32 v48, v48, 1, 0
	;; [unrolled: 1-line block ×3, first 2 shown]
	v_cmp_gt_u32_e64 s0, 18, v0
	v_lshrrev_b32_e32 v63, 16, v33
	v_lshrrev_b32_e32 v65, 16, v34
	s_delay_alu instid0(VALU_DEP_2) | instskip(SKIP_1) | instid1(VALU_DEP_3)
	v_mul_f16_e32 v68, v39, v63
	v_mul_f16_e32 v69, v31, v63
	;; [unrolled: 1-line block ×20, first 2 shown]
	v_fmac_f16_e32 v68, v31, v33
	v_fma_f16 v31, v39, v33, -v69
	v_fmac_f16_e32 v70, v32, v34
	v_fma_f16 v32, v44, v34, -v71
	;; [unrolled: 2-line block ×4, first 2 shown]
	v_fmac_f16_e32 v76, v23, v33
	v_fmac_f16_e32 v78, v29, v34
	;; [unrolled: 1-line block ×5, first 2 shown]
	v_fma_f16 v28, v45, v33, -v63
	v_fmac_f16_e32 v85, v26, v34
	v_fma_f16 v26, v43, v34, -v65
	v_fma_f16 v23, v37, v33, -v77
	;; [unrolled: 1-line block ×5, first 2 shown]
	v_add_f16_e32 v34, v68, v70
	v_sub_f16_e32 v36, v31, v32
	v_add_f16_e32 v37, v22, v31
	v_add_f16_e32 v31, v31, v32
	;; [unrolled: 1-line block ×3, first 2 shown]
	v_sub_f16_e32 v41, v24, v30
	v_add_f16_e32 v42, v21, v24
	v_add_f16_e32 v24, v24, v30
	;; [unrolled: 1-line block ×5, first 2 shown]
	v_sub_f16_e32 v75, v80, v82
	v_add_f16_e32 v77, v84, v85
	v_sub_f16_e32 v79, v28, v26
	v_add_f16_e32 v80, v19, v28
	v_add_f16_e32 v28, v28, v26
	;; [unrolled: 1-line block ×4, first 2 shown]
	v_sub_f16_e32 v43, v72, v74
	v_sub_f16_e32 v63, v23, v29
	v_add_f16_e32 v65, v20, v23
	v_add_f16_e32 v23, v23, v29
	v_sub_f16_e32 v72, v25, v27
	v_add_f16_e32 v73, v18, v25
	v_add_f16_e32 v25, v25, v27
	v_sub_f16_e32 v38, v68, v70
	v_fmac_f16_e32 v17, -0.5, v34
	v_fmac_f16_e32 v22, -0.5, v31
	v_add_f16_e32 v44, v14, v76
	v_sub_f16_e32 v68, v76, v78
	v_add_f16_e32 v76, v15, v84
	v_sub_f16_e32 v81, v84, v85
	v_fmac_f16_e32 v16, -0.5, v40
	v_fmac_f16_e32 v21, -0.5, v24
	;; [unrolled: 1-line block ×6, first 2 shown]
	v_add_f16_e32 v33, v33, v70
	v_add_f16_e32 v32, v37, v32
	v_fmac_f16_e32 v20, -0.5, v23
	v_fmac_f16_e32 v18, -0.5, v25
	v_fmamk_f16 v28, v36, 0xbaee, v17
	v_fmamk_f16 v34, v38, 0x3aee, v22
	v_fmac_f16_e32 v17, 0x3aee, v36
	v_fmac_f16_e32 v22, 0xbaee, v38
	v_add_f16_e32 v31, v39, v74
	v_add_f16_e32 v30, v42, v30
	;; [unrolled: 1-line block ×5, first 2 shown]
	v_fmamk_f16 v36, v41, 0xbaee, v16
	v_fmamk_f16 v37, v43, 0x3aee, v21
	v_fmac_f16_e32 v21, 0xbaee, v43
	v_fmamk_f16 v38, v63, 0xbaee, v14
	v_fmac_f16_e32 v14, 0x3aee, v63
	;; [unrolled: 2-line block ×3, first 2 shown]
	v_fmamk_f16 v42, v79, 0xbaee, v15
	v_fmamk_f16 v43, v81, 0x3aee, v19
	v_fmac_f16_e32 v19, 0xbaee, v81
	v_add_f16_e32 v29, v65, v29
	v_add_f16_e32 v27, v73, v27
	;; [unrolled: 1-line block ×3, first 2 shown]
	v_fmac_f16_e32 v16, 0x3aee, v41
	v_fmamk_f16 v39, v68, 0x3aee, v20
	v_fmac_f16_e32 v20, 0xbaee, v68
	v_fmamk_f16 v41, v75, 0x3aee, v18
	v_fmac_f16_e32 v18, 0xbaee, v75
	v_fmac_f16_e32 v15, 0x3aee, v79
	ds_store_b16 v46, v33
	ds_store_b16 v46, v28 offset:4
	ds_store_b16 v46, v17 offset:8
	ds_store_b16 v47, v31
	ds_store_b16 v47, v36 offset:4
	ds_store_b16 v47, v16 offset:8
	;; [unrolled: 3-line block ×5, first 2 shown]
	global_wb scope:SCOPE_SE
	s_wait_dscnt 0x0
	s_barrier_signal -1
	s_barrier_wait -1
	global_inv scope:SCOPE_SE
	ds_load_u16 v23, v4 offset:1512
	ds_load_u16 v24, v4 offset:1764
	ds_load_u16 v25, v4
	ds_load_u16 v28, v4 offset:252
	ds_load_u16 v31, v4 offset:504
	;; [unrolled: 1-line block ×12, first 2 shown]
	global_wb scope:SCOPE_SE
	s_wait_dscnt 0x0
	s_barrier_signal -1
	s_barrier_wait -1
	global_inv scope:SCOPE_SE
	ds_store_b16 v46, v32
	ds_store_b16 v46, v34 offset:4
	ds_store_b16 v46, v22 offset:8
	ds_store_b16 v47, v30
	ds_store_b16 v47, v37 offset:4
	ds_store_b16 v47, v21 offset:8
	;; [unrolled: 3-line block ×5, first 2 shown]
	global_wb scope:SCOPE_SE
	s_wait_dscnt 0x0
	s_barrier_signal -1
	s_barrier_wait -1
	global_inv scope:SCOPE_SE
	s_clause 0x1
	global_load_b64 v[13:14], v64, s[4:5] offset:16
	global_load_b64 v[15:16], v66, s[4:5] offset:16
	v_lshlrev_b32_e32 v19, 3, v61
	v_lshlrev_b32_e32 v21, 3, v62
	s_clause 0x2
	global_load_b64 v[17:18], v67, s[4:5] offset:16
	global_load_b64 v[19:20], v19, s[4:5] offset:16
	;; [unrolled: 1-line block ×3, first 2 shown]
	v_mul_u32_u24_e32 v32, 0xe38f, v52
	v_mul_u32_u24_e32 v30, 0xe38f, v51
	v_and_b32_e32 v34, 0xffff, v49
	v_and_b32_e32 v35, 0xffff, v54
	v_mul_u32_u24_e32 v29, 0xe38f, v50
	v_lshrrev_b32_e32 v32, 20, v32
	v_lshrrev_b32_e32 v30, 20, v30
	v_mul_u32_u24_e32 v37, 36, v55
	v_mul_u32_u24_e32 v39, 36, v56
	;; [unrolled: 1-line block ×3, first 2 shown]
	v_mul_lo_u16 v49, v32, 18
	v_mul_lo_u16 v48, v30, 18
	v_mul_u32_u24_e32 v34, 36, v34
	v_mul_u32_u24_e32 v35, 36, v35
	v_lshlrev_b32_e32 v50, 1, v60
	v_sub_nc_u16 v12, v12, v49
	v_sub_nc_u16 v11, v11, v48
	v_lshlrev_b32_e32 v49, 1, v59
	v_lshlrev_b32_e32 v51, 1, v61
	;; [unrolled: 1-line block ×3, first 2 shown]
	v_and_b32_e32 v48, 0xffff, v12
	v_lshlrev_b32_e32 v12, 1, v58
	v_add3_u32 v35, 0, v35, v49
	v_add3_u32 v37, 0, v37, v50
	;; [unrolled: 1-line block ×5, first 2 shown]
	ds_load_u16 v12, v4 offset:1512
	ds_load_u16 v49, v4 offset:1764
	ds_load_u16 v50, v4
	ds_load_u16 v51, v4 offset:252
	ds_load_u16 v52, v4 offset:504
	;; [unrolled: 1-line block ×12, first 2 shown]
	v_mul_lo_u16 v26, v10, 57
	v_mul_lo_u16 v27, v9, 57
	v_lshrrev_b32_e32 v29, 20, v29
	v_and_b32_e32 v11, 0xffff, v11
	global_wb scope:SCOPE_SE
	s_wait_loadcnt_dscnt 0x0
	v_lshrrev_b16 v26, 10, v26
	v_lshrrev_b16 v27, 10, v27
	v_mul_lo_u16 v47, v29, 18
	s_barrier_signal -1
	s_barrier_wait -1
	v_mul_lo_u16 v43, v26, 18
	v_mul_lo_u16 v46, v27, 18
	v_sub_nc_u16 v47, v6, v47
	global_inv scope:SCOPE_SE
	v_sub_nc_u16 v43, v0, v43
	v_sub_nc_u16 v46, v5, v46
	v_and_b32_e32 v47, 0xffff, v47
	s_delay_alu instid0(VALU_DEP_3) | instskip(NEXT) | instid1(VALU_DEP_3)
	v_and_b32_e32 v43, 0xff, v43
	v_and_b32_e32 v46, 0xff, v46
	s_delay_alu instid0(VALU_DEP_3) | instskip(NEXT) | instid1(VALU_DEP_3)
	v_lshlrev_b32_e32 v55, 3, v47
	v_lshlrev_b32_e32 v53, 3, v43
	s_delay_alu instid0(VALU_DEP_3)
	v_lshlrev_b32_e32 v54, 3, v46
	v_lshrrev_b32_e32 v69, 16, v13
	v_lshrrev_b32_e32 v70, 16, v14
	;; [unrolled: 1-line block ×10, first 2 shown]
	v_mul_f16_e32 v79, v58, v69
	v_mul_f16_e32 v80, v60, v70
	v_mul_f16_e32 v69, v38, v69
	v_mul_f16_e32 v70, v65, v70
	v_mul_f16_e32 v81, v12, v71
	v_mul_f16_e32 v82, v61, v72
	v_mul_f16_e32 v71, v23, v71
	v_mul_f16_e32 v72, v42, v72
	v_mul_f16_e32 v83, v49, v73
	v_mul_f16_e32 v84, v62, v74
	v_mul_f16_e32 v85, v57, v75
	v_mul_f16_e32 v86, v64, v76
	v_mul_f16_e32 v87, v67, v77
	v_mul_f16_e32 v88, v66, v78
	v_mul_f16_e32 v73, v24, v73
	v_mul_f16_e32 v74, v44, v74
	v_mul_f16_e32 v75, v36, v75
	v_mul_f16_e32 v76, v45, v76
	v_mul_f16_e32 v77, v68, v77
	v_mul_f16_e32 v78, v63, v78
	v_fmac_f16_e32 v79, v38, v13
	v_fmac_f16_e32 v80, v65, v14
	v_fma_f16 v13, v58, v13, -v69
	v_fma_f16 v14, v60, v14, -v70
	v_fmac_f16_e32 v81, v23, v15
	v_fmac_f16_e32 v82, v42, v16
	v_fma_f16 v12, v12, v15, -v71
	v_fma_f16 v15, v61, v16, -v72
	v_fmac_f16_e32 v83, v24, v17
	v_fmac_f16_e32 v84, v44, v18
	;; [unrolled: 1-line block ×6, first 2 shown]
	v_fma_f16 v16, v49, v17, -v73
	v_fma_f16 v17, v62, v18, -v74
	;; [unrolled: 1-line block ×6, first 2 shown]
	v_add_f16_e32 v23, v79, v80
	v_sub_f16_e32 v24, v13, v14
	v_add_f16_e32 v36, v50, v13
	v_add_f16_e32 v13, v13, v14
	;; [unrolled: 1-line block ×4, first 2 shown]
	v_sub_f16_e32 v45, v12, v15
	v_add_f16_e32 v49, v51, v12
	v_add_f16_e32 v12, v12, v15
	;; [unrolled: 1-line block ×5, first 2 shown]
	v_sub_f16_e32 v61, v16, v17
	v_add_f16_e32 v62, v52, v16
	v_add_f16_e32 v16, v16, v17
	v_sub_f16_e32 v66, v18, v19
	v_add_f16_e32 v67, v56, v18
	v_add_f16_e32 v18, v18, v19
	;; [unrolled: 3-line block ×3, first 2 shown]
	v_fmac_f16_e32 v25, -0.5, v23
	v_sub_f16_e32 v38, v79, v80
	v_fmac_f16_e32 v50, -0.5, v13
	v_add_f16_e32 v42, v28, v81
	v_fmac_f16_e32 v28, -0.5, v44
	v_sub_f16_e32 v57, v81, v82
	v_add_f16_e32 v58, v31, v83
	v_add_f16_e32 v64, v33, v85
	v_add_f16_e32 v69, v40, v87
	v_add_f16_e32 v22, v22, v80
	v_fmac_f16_e32 v51, -0.5, v12
	v_fmac_f16_e32 v31, -0.5, v60
	;; [unrolled: 1-line block ×4, first 2 shown]
	v_sub_f16_e32 v63, v83, v84
	v_sub_f16_e32 v68, v85, v86
	;; [unrolled: 1-line block ×3, first 2 shown]
	v_add_f16_e32 v14, v36, v14
	v_fmac_f16_e32 v52, -0.5, v16
	v_fmac_f16_e32 v56, -0.5, v18
	;; [unrolled: 1-line block ×3, first 2 shown]
	v_fmamk_f16 v20, v24, 0xbaee, v25
	v_fmac_f16_e32 v25, 0x3aee, v24
	v_fmamk_f16 v23, v38, 0x3aee, v50
	v_add_f16_e32 v13, v42, v82
	v_fmac_f16_e32 v50, 0xbaee, v38
	v_add_f16_e32 v15, v49, v15
	v_fmamk_f16 v24, v45, 0xbaee, v28
	v_add_f16_e32 v12, v58, v84
	v_add_f16_e32 v16, v64, v86
	;; [unrolled: 1-line block ×3, first 2 shown]
	v_fmac_f16_e32 v28, 0x3aee, v45
	v_fmamk_f16 v36, v57, 0x3aee, v51
	v_fmamk_f16 v38, v61, 0xbaee, v31
	v_fmac_f16_e32 v31, 0x3aee, v61
	v_fmamk_f16 v44, v66, 0xbaee, v33
	v_fmac_f16_e32 v33, 0x3aee, v66
	;; [unrolled: 2-line block ×3, first 2 shown]
	ds_store_b16 v34, v22
	ds_store_b16 v34, v20 offset:12
	ds_store_b16 v34, v25 offset:24
	ds_store_b16 v35, v13
	ds_store_b16 v35, v24 offset:12
	ds_store_b16 v35, v28 offset:24
	;; [unrolled: 3-line block ×5, first 2 shown]
	v_lshlrev_b32_e32 v13, 3, v11
	v_add_f16_e32 v17, v62, v17
	v_add_f16_e32 v19, v67, v19
	;; [unrolled: 1-line block ×3, first 2 shown]
	v_fmac_f16_e32 v51, 0xbaee, v57
	v_fmamk_f16 v42, v63, 0x3aee, v52
	v_fmac_f16_e32 v52, 0xbaee, v63
	v_fmamk_f16 v45, v68, 0x3aee, v56
	;; [unrolled: 2-line block ×3, first 2 shown]
	v_fmac_f16_e32 v59, 0xbaee, v73
	global_wb scope:SCOPE_SE
	s_wait_dscnt 0x0
	s_barrier_signal -1
	s_barrier_wait -1
	global_inv scope:SCOPE_SE
	ds_load_u16 v25, v4 offset:1512
	ds_load_u16 v28, v4 offset:1764
	ds_load_u16 v31, v4
	ds_load_u16 v33, v4 offset:252
	ds_load_u16 v61, v4 offset:504
	;; [unrolled: 1-line block ×12, first 2 shown]
	global_wb scope:SCOPE_SE
	s_wait_dscnt 0x0
	s_barrier_signal -1
	s_barrier_wait -1
	global_inv scope:SCOPE_SE
	ds_store_b16 v34, v14
	ds_store_b16 v34, v23 offset:12
	ds_store_b16 v34, v50 offset:24
	ds_store_b16 v35, v15
	ds_store_b16 v35, v36 offset:12
	ds_store_b16 v35, v51 offset:24
	;; [unrolled: 3-line block ×5, first 2 shown]
	global_wb scope:SCOPE_SE
	s_wait_dscnt 0x0
	s_barrier_signal -1
	s_barrier_wait -1
	global_inv scope:SCOPE_SE
	s_clause 0x1
	global_load_b64 v[15:16], v53, s[4:5] offset:64
	global_load_b64 v[17:18], v54, s[4:5] offset:64
	v_lshlrev_b32_e32 v14, 3, v48
	s_clause 0x2
	global_load_b64 v[19:20], v55, s[4:5] offset:64
	global_load_b64 v[21:22], v13, s[4:5] offset:64
	;; [unrolled: 1-line block ×3, first 2 shown]
	v_and_b32_e32 v13, 0xffff, v26
	v_and_b32_e32 v14, 0xffff, v27
	v_mul_u32_u24_e32 v26, 0x6c, v29
	v_mul_u32_u24_e32 v27, 0x6c, v30
	;; [unrolled: 1-line block ×5, first 2 shown]
	v_lshlrev_b32_e32 v30, 1, v43
	v_lshlrev_b32_e32 v32, 1, v46
	;; [unrolled: 1-line block ×5, first 2 shown]
	v_add3_u32 v36, 0, v13, v30
	v_add3_u32 v35, 0, v14, v32
	;; [unrolled: 1-line block ×5, first 2 shown]
	ds_load_u16 v26, v4 offset:1512
	ds_load_u16 v27, v4 offset:1764
	ds_load_u16 v40, v4
	ds_load_u16 v39, v4 offset:252
	ds_load_u16 v38, v4 offset:504
	;; [unrolled: 1-line block ×12, first 2 shown]
	global_wb scope:SCOPE_SE
	s_wait_loadcnt_dscnt 0x0
	s_barrier_signal -1
	s_barrier_wait -1
	global_inv scope:SCOPE_SE
	v_lshrrev_b32_e32 v41, 16, v15
	v_lshrrev_b32_e32 v42, 16, v16
	;; [unrolled: 1-line block ×10, first 2 shown]
	v_mul_f16_e32 v53, v30, v41
	v_mul_f16_e32 v55, v32, v42
	;; [unrolled: 1-line block ×15, first 2 shown]
	v_fmac_f16_e32 v53, v58, v15
	v_fmac_f16_e32 v55, v68, v16
	v_mul_f16_e32 v51, v65, v51
	v_mul_f16_e32 v76, v63, v54
	v_mul_f16_e32 v77, v66, v56
	v_mul_f16_e32 v78, v69, v57
	v_mul_f16_e32 v79, v67, v59
	v_fmac_f16_e32 v48, v25, v17
	v_fmac_f16_e32 v50, v64, v18
	;; [unrolled: 1-line block ×8, first 2 shown]
	v_fma_f16 v60, v30, v15, -v60
	v_fma_f16 v57, v32, v16, -v72
	v_add_f16_e32 v16, v53, v55
	v_fma_f16 v59, v26, v17, -v73
	v_fma_f16 v56, v45, v18, -v74
	;; [unrolled: 1-line block ×8, first 2 shown]
	v_add_f16_e32 v19, v48, v50
	v_add_f16_e32 v22, v46, v49
	;; [unrolled: 1-line block ×5, first 2 shown]
	v_sub_f16_e32 v17, v60, v57
	v_fmac_f16_e32 v31, -0.5, v16
	v_add_f16_e32 v18, v33, v48
	v_sub_f16_e32 v20, v59, v56
	v_add_f16_e32 v21, v61, v46
	v_sub_f16_e32 v23, v58, v54
	;; [unrolled: 2-line block ×4, first 2 shown]
	v_fmac_f16_e32 v33, -0.5, v19
	v_fmac_f16_e32 v61, -0.5, v22
	;; [unrolled: 1-line block ×4, first 2 shown]
	v_add_f16_e32 v15, v15, v55
	v_fmamk_f16 v22, v17, 0xbaee, v31
	v_fmac_f16_e32 v31, 0x3aee, v17
	v_add_f16_e32 v16, v18, v50
	v_add_f16_e32 v19, v24, v43
	v_fmamk_f16 v17, v20, 0xbaee, v33
	v_fmac_f16_e32 v33, 0x3aee, v20
	v_fmamk_f16 v20, v23, 0xbaee, v61
	v_fmac_f16_e32 v61, 0x3aee, v23
	v_fmamk_f16 v23, v26, 0xbaee, v62
	v_fmamk_f16 v24, v29, 0xbaee, v12
	v_add_f16_e32 v18, v21, v49
	v_add_f16_e32 v21, v27, v44
	v_fmac_f16_e32 v62, 0x3aee, v26
	v_fmac_f16_e32 v12, 0x3aee, v29
	ds_store_b16 v36, v15
	ds_store_b16 v36, v22 offset:36
	ds_store_b16 v36, v31 offset:72
	ds_store_b16 v35, v16
	ds_store_b16 v35, v17 offset:36
	ds_store_b16 v35, v33 offset:72
	;; [unrolled: 3-line block ×5, first 2 shown]
	global_wb scope:SCOPE_SE
	s_wait_dscnt 0x0
	s_barrier_signal -1
	s_barrier_wait -1
	global_inv scope:SCOPE_SE
	ds_load_u16 v15, v4
	ds_load_u16 v24, v4 offset:2160
	ds_load_u16 v22, v4 offset:1872
	;; [unrolled: 1-line block ×13, first 2 shown]
                                        ; implicit-def: $vgpr19
                                        ; implicit-def: $vgpr18
                                        ; implicit-def: $vgpr17
                                        ; implicit-def: $vgpr20
                                        ; implicit-def: $vgpr21
	s_and_saveexec_b32 s1, s0
	s_cbranch_execz .LBB0_19
; %bb.18:
	ds_load_u16 v12, v4 offset:504
	ds_load_u16 v7, v4 offset:1044
	ds_load_u16 v19, v4 offset:1584
	ds_load_u16 v21, v4 offset:2124
	ds_load_u16 v18, v4 offset:2664
	ds_load_u16 v20, v4 offset:3204
	ds_load_u16 v17, v4 offset:3744
.LBB0_19:
	s_wait_alu 0xfffe
	s_or_b32 exec_lo, exec_lo, s1
	v_add_f16_e32 v61, v60, v57
	v_add_f16_e32 v60, v40, v60
	v_sub_f16_e32 v53, v53, v55
	v_add_f16_e32 v55, v59, v56
	v_add_f16_e32 v59, v39, v59
	v_fmac_f16_e32 v40, -0.5, v61
	v_add_f16_e32 v61, v58, v54
	v_sub_f16_e32 v48, v48, v50
	v_fmac_f16_e32 v39, -0.5, v55
	v_sub_f16_e32 v46, v46, v49
	v_fmamk_f16 v55, v53, 0x3aee, v40
	v_fmac_f16_e32 v40, 0xbaee, v53
	v_add_f16_e32 v53, v38, v58
	v_fmac_f16_e32 v38, -0.5, v61
	v_fmamk_f16 v49, v48, 0x3aee, v39
	v_fmac_f16_e32 v39, 0xbaee, v48
	v_sub_f16_e32 v41, v41, v43
	v_add_f16_e32 v48, v53, v54
	v_add_f16_e32 v53, v51, v45
	v_fmamk_f16 v54, v46, 0x3aee, v38
	v_fmac_f16_e32 v38, 0xbaee, v46
	v_add_f16_e32 v46, v52, v47
	v_add_f16_e32 v51, v37, v51
	v_fmac_f16_e32 v37, -0.5, v53
	v_add_f16_e32 v43, v11, v52
	v_sub_f16_e32 v42, v42, v44
	v_fmac_f16_e32 v11, -0.5, v46
	v_add_f16_e32 v57, v60, v57
	v_add_f16_e32 v50, v59, v56
	;; [unrolled: 1-line block ×3, first 2 shown]
	v_fmamk_f16 v45, v41, 0x3aee, v37
	v_fmac_f16_e32 v37, 0xbaee, v41
	v_add_f16_e32 v41, v43, v47
	v_fmamk_f16 v43, v42, 0x3aee, v11
	v_fmac_f16_e32 v11, 0xbaee, v42
	global_wb scope:SCOPE_SE
	s_wait_dscnt 0x0
	s_barrier_signal -1
	s_barrier_wait -1
	global_inv scope:SCOPE_SE
	ds_store_b16 v36, v57
	ds_store_b16 v36, v55 offset:36
	ds_store_b16 v36, v40 offset:72
	ds_store_b16 v35, v50
	ds_store_b16 v35, v49 offset:36
	ds_store_b16 v35, v39 offset:72
	;; [unrolled: 3-line block ×5, first 2 shown]
	global_wb scope:SCOPE_SE
	s_wait_dscnt 0x0
	s_barrier_signal -1
	s_barrier_wait -1
	global_inv scope:SCOPE_SE
	ds_load_u16 v14, v4
	ds_load_u16 v44, v4 offset:2160
	ds_load_u16 v42, v4 offset:1872
	;; [unrolled: 1-line block ×13, first 2 shown]
                                        ; implicit-def: $vgpr39
                                        ; implicit-def: $vgpr38
                                        ; implicit-def: $vgpr37
                                        ; implicit-def: $vgpr40
                                        ; implicit-def: $vgpr41
	s_and_saveexec_b32 s1, s0
	s_cbranch_execz .LBB0_21
; %bb.20:
	ds_load_u16 v11, v4 offset:504
	ds_load_u16 v8, v4 offset:1044
	;; [unrolled: 1-line block ×7, first 2 shown]
.LBB0_21:
	s_wait_alu 0xfffe
	s_or_b32 exec_lo, exec_lo, s1
	v_mul_lo_u16 v10, v10, 19
	v_mul_lo_u16 v9, v9, 19
	s_delay_alu instid0(VALU_DEP_2) | instskip(NEXT) | instid1(VALU_DEP_2)
	v_lshrrev_b16 v10, 10, v10
	v_lshrrev_b16 v9, 10, v9
	s_delay_alu instid0(VALU_DEP_2) | instskip(NEXT) | instid1(VALU_DEP_2)
	v_mul_lo_u16 v34, v10, 54
	v_mul_lo_u16 v35, v9, 54
	v_and_b32_e32 v10, 0xffff, v10
	v_and_b32_e32 v9, 0xffff, v9
	s_delay_alu instid0(VALU_DEP_4) | instskip(NEXT) | instid1(VALU_DEP_4)
	v_sub_nc_u16 v34, v0, v34
	v_sub_nc_u16 v35, v5, v35
	s_delay_alu instid0(VALU_DEP_4) | instskip(NEXT) | instid1(VALU_DEP_4)
	v_mul_u32_u24_e32 v10, 0x2f4, v10
	v_mul_u32_u24_e32 v9, 0x2f4, v9
	s_delay_alu instid0(VALU_DEP_4) | instskip(NEXT) | instid1(VALU_DEP_4)
	v_and_b32_e32 v34, 0xff, v34
	v_and_b32_e32 v35, 0xff, v35
	s_delay_alu instid0(VALU_DEP_2) | instskip(NEXT) | instid1(VALU_DEP_2)
	v_mul_u32_u24_e32 v36, 6, v34
	v_mul_u32_u24_e32 v54, 6, v35
	v_lshlrev_b32_e32 v34, 1, v34
	v_lshlrev_b32_e32 v35, 1, v35
	s_delay_alu instid0(VALU_DEP_4) | instskip(NEXT) | instid1(VALU_DEP_4)
	v_lshlrev_b32_e32 v36, 2, v36
	v_lshlrev_b32_e32 v54, 2, v54
	s_delay_alu instid0(VALU_DEP_3)
	v_add3_u32 v35, 0, v9, v35
	s_clause 0x3
	global_load_b128 v[64:67], v36, s[4:5] offset:208
	global_load_b64 v[76:77], v36, s[4:5] offset:224
	global_load_b128 v[68:71], v54, s[4:5] offset:208
	global_load_b64 v[78:79], v54, s[4:5] offset:224
	v_lshrrev_b16 v36, 1, v6
	s_delay_alu instid0(VALU_DEP_1) | instskip(NEXT) | instid1(VALU_DEP_1)
	v_and_b32_e32 v36, 0xffff, v36
	v_mul_u32_u24_e32 v36, 0x97b5, v36
	s_delay_alu instid0(VALU_DEP_1) | instskip(NEXT) | instid1(VALU_DEP_1)
	v_lshrrev_b32_e32 v36, 20, v36
	v_mul_lo_u16 v36, v36, 54
	s_delay_alu instid0(VALU_DEP_1) | instskip(NEXT) | instid1(VALU_DEP_1)
	v_sub_nc_u16 v36, v6, v36
	v_and_b32_e32 v54, 0xffff, v36
	s_delay_alu instid0(VALU_DEP_1) | instskip(NEXT) | instid1(VALU_DEP_1)
	v_mul_u32_u24_e32 v36, 6, v54
	v_lshlrev_b32_e32 v36, 2, v36
	s_clause 0x1
	global_load_b128 v[72:75], v36, s[4:5] offset:208
	global_load_b64 v[80:81], v36, s[4:5] offset:224
	v_add3_u32 v36, 0, v10, v34
	v_lshl_add_u32 v34, v54, 1, 0
	global_wb scope:SCOPE_SE
	s_wait_loadcnt_dscnt 0x0
	s_barrier_signal -1
	s_barrier_wait -1
	global_inv scope:SCOPE_SE
	v_lshrrev_b32_e32 v56, 16, v76
	v_lshrrev_b32_e32 v9, 16, v64
	;; [unrolled: 1-line block ×11, first 2 shown]
	v_mul_f16_e32 v59, v53, v9
	v_mul_f16_e32 v58, v51, v10
	;; [unrolled: 1-line block ×6, first 2 shown]
	v_lshrrev_b32_e32 v84, 16, v70
	v_mul_f16_e32 v88, v33, v9
	v_mul_f16_e32 v89, v31, v10
	v_mul_f16_e32 v60, v49, v54
	v_mul_f16_e32 v90, v29, v54
	v_mul_f16_e32 v61, v44, v55
	v_mul_f16_e32 v91, v24, v55
	v_mul_f16_e32 v92, v32, v56
	v_mul_f16_e32 v10, v47, v82
	v_mul_f16_e32 v9, v45, v83
	v_mul_f16_e32 v55, v48, v85
	v_mul_f16_e32 v56, v46, v86
	v_mul_f16_e32 v87, v23, v87
	v_fmac_f16_e32 v59, v33, v64
	v_fmac_f16_e32 v58, v31, v65
	;; [unrolled: 1-line block ×5, first 2 shown]
	v_mul_f16_e32 v82, v27, v82
	v_mul_f16_e32 v83, v25, v83
	;; [unrolled: 1-line block ×6, first 2 shown]
	v_fma_f16 v53, v53, v64, -v88
	v_fma_f16 v51, v51, v65, -v89
	v_fmac_f16_e32 v60, v29, v66
	v_fma_f16 v49, v49, v66, -v90
	v_fmac_f16_e32 v61, v24, v67
	v_fma_f16 v64, v44, v67, -v91
	v_lshrrev_b32_e32 v23, 16, v72
	v_fma_f16 v52, v52, v76, -v92
	v_fma_f16 v50, v50, v77, -v93
	v_fmac_f16_e32 v10, v27, v68
	v_fmac_f16_e32 v9, v25, v69
	;; [unrolled: 1-line block ×4, first 2 shown]
	v_lshrrev_b32_e32 v25, 16, v73
	v_lshrrev_b32_e32 v26, 16, v74
	;; [unrolled: 1-line block ×5, first 2 shown]
	v_mul_f16_e32 v24, v8, v23
	v_add_f16_e32 v65, v59, v63
	v_add_f16_e32 v67, v58, v62
	v_fma_f16 v44, v47, v68, -v82
	v_fma_f16 v45, v45, v69, -v83
	v_fmac_f16_e32 v54, v22, v70
	v_fma_f16 v22, v42, v70, -v84
	v_fma_f16 v42, v48, v71, -v85
	;; [unrolled: 1-line block ×4, first 2 shown]
	v_mul_f16_e32 v30, v7, v23
	v_mul_f16_e32 v23, v39, v25
	;; [unrolled: 1-line block ×10, first 2 shown]
	v_sub_f16_e32 v66, v53, v50
	v_sub_f16_e32 v68, v51, v52
	v_add_f16_e32 v69, v60, v61
	v_sub_f16_e32 v70, v64, v49
	v_add_f16_e32 v71, v10, v57
	v_add_f16_e32 v77, v9, v56
	v_fmac_f16_e32 v24, v7, v72
	v_add_f16_e32 v7, v67, v65
	v_mul_f16_e32 v48, v17, v29
	v_sub_f16_e32 v76, v44, v43
	v_sub_f16_e32 v78, v45, v46
	v_add_f16_e32 v79, v54, v55
	v_sub_f16_e32 v82, v42, v22
	v_fmac_f16_e32 v23, v19, v73
	v_fma_f16 v31, v39, v73, -v31
	v_fma_f16 v29, v41, v74, -v32
	v_fmac_f16_e32 v26, v18, v75
	v_fma_f16 v32, v38, v75, -v33
	v_fmac_f16_e32 v27, v20, v80
	v_fmac_f16_e32 v28, v17, v81
	v_sub_f16_e32 v17, v65, v69
	v_sub_f16_e32 v18, v69, v67
	v_add_f16_e32 v19, v70, v68
	v_sub_f16_e32 v20, v70, v68
	v_sub_f16_e32 v38, v68, v66
	v_add_f16_e32 v39, v77, v71
	v_add_f16_e32 v7, v69, v7
	v_fma_f16 v30, v8, v72, -v30
	v_fmac_f16_e32 v25, v21, v74
	v_fma_f16 v33, v40, v80, -v47
	v_sub_f16_e32 v8, v67, v65
	v_sub_f16_e32 v21, v66, v70
	;; [unrolled: 1-line block ×6, first 2 shown]
	v_add_f16_e32 v19, v19, v66
	v_mul_f16_e32 v17, 0x3a52, v17
	v_mul_f16_e32 v66, 0x2b26, v18
	;; [unrolled: 1-line block ×4, first 2 shown]
	v_add_f16_e32 v39, v79, v39
	v_add_f16_e32 v15, v15, v7
	v_fma_f16 v37, v37, v81, -v48
	v_sub_f16_e32 v40, v77, v71
	v_add_f16_e32 v48, v82, v78
	v_sub_f16_e32 v67, v76, v82
	v_mul_f16_e32 v41, 0x3a52, v41
	v_mul_f16_e32 v70, 0x2b26, v47
	;; [unrolled: 1-line block ×4, first 2 shown]
	v_fmamk_f16 v18, v18, 0x2b26, v17
	v_fma_f16 v66, v8, 0x39e0, -v66
	v_fma_f16 v8, v8, 0xb9e0, -v17
	v_fmamk_f16 v17, v21, 0xb574, v20
	v_fma_f16 v20, v38, 0xbb00, -v20
	v_fma_f16 v21, v21, 0x3574, -v69
	v_add_f16_e32 v16, v16, v39
	v_fmamk_f16 v7, v7, 0xbcab, v15
	v_add_f16_e32 v48, v48, v76
	v_fmamk_f16 v38, v47, 0x2b26, v41
	v_fma_f16 v47, v40, 0x39e0, -v70
	v_fma_f16 v40, v40, 0xb9e0, -v41
	v_fmamk_f16 v41, v67, 0xb574, v65
	v_fma_f16 v65, v68, 0xbb00, -v65
	v_fma_f16 v67, v67, 0x3574, -v71
	v_fmac_f16_e32 v17, 0xb70e, v19
	v_fmac_f16_e32 v20, 0xb70e, v19
	v_fmac_f16_e32 v21, 0xb70e, v19
	v_fmamk_f16 v19, v39, 0xbcab, v16
	v_add_f16_e32 v18, v18, v7
	v_add_f16_e32 v39, v66, v7
	;; [unrolled: 1-line block ×3, first 2 shown]
	v_fmac_f16_e32 v41, 0xb70e, v48
	v_fmac_f16_e32 v65, 0xb70e, v48
	;; [unrolled: 1-line block ×3, first 2 shown]
	v_add_f16_e32 v8, v38, v19
	v_add_f16_e32 v38, v47, v19
	;; [unrolled: 1-line block ×5, first 2 shown]
	v_sub_f16_e32 v48, v39, v20
	v_add_f16_e32 v20, v20, v39
	v_sub_f16_e32 v7, v7, v21
	v_sub_f16_e32 v17, v18, v17
	v_add_f16_e32 v18, v41, v8
	v_add_f16_e32 v21, v67, v19
	v_sub_f16_e32 v39, v38, v65
	v_add_f16_e32 v38, v65, v38
	v_sub_f16_e32 v19, v19, v67
	v_sub_f16_e32 v8, v8, v41
	ds_store_b16 v36, v15
	ds_store_b16 v36, v40 offset:108
	ds_store_b16 v36, v47 offset:216
	;; [unrolled: 1-line block ×6, first 2 shown]
	ds_store_b16 v35, v16
	ds_store_b16 v35, v18 offset:108
	ds_store_b16 v35, v21 offset:216
	;; [unrolled: 1-line block ×6, first 2 shown]
	s_and_saveexec_b32 s1, s0
	s_cbranch_execz .LBB0_23
; %bb.22:
	v_add_f16_e32 v7, v24, v28
	v_add_f16_e32 v8, v23, v27
	v_add_f16_e32 v15, v25, v26
	v_sub_f16_e32 v17, v32, v29
	v_sub_f16_e32 v19, v31, v33
	;; [unrolled: 1-line block ×3, first 2 shown]
	v_add_f16_e32 v18, v8, v7
	v_sub_f16_e32 v20, v7, v15
	v_sub_f16_e32 v21, v15, v8
	;; [unrolled: 1-line block ×4, first 2 shown]
	v_add_f16_e32 v15, v15, v18
	v_sub_f16_e32 v18, v17, v19
	v_add_f16_e32 v17, v17, v19
	v_sub_f16_e32 v19, v19, v16
	v_mul_f16_e32 v8, 0x3a52, v20
	v_add_f16_e32 v12, v12, v15
	v_mul_f16_e32 v18, 0x3846, v18
	v_add_f16_e32 v16, v17, v16
	v_mul_f16_e32 v20, 0xbb00, v19
	v_fmamk_f16 v17, v21, 0x2b26, v8
	v_mul_f16_e32 v21, 0x2b26, v21
	v_fmamk_f16 v15, v15, 0xbcab, v12
	v_fmamk_f16 v39, v38, 0xb574, v18
	v_fma_f16 v8, v7, 0xb9e0, -v8
	v_fma_f16 v20, v38, 0x3574, -v20
	;; [unrolled: 1-line block ×4, first 2 shown]
	v_add_f16_e32 v17, v17, v15
	v_fmac_f16_e32 v39, 0xb70e, v16
	v_add_f16_e32 v8, v8, v15
	v_fmac_f16_e32 v20, 0xb70e, v16
	v_fmac_f16_e32 v18, 0xb70e, v16
	v_add_f16_e32 v7, v7, v15
	v_sub_f16_e32 v15, v17, v39
	v_add_f16_e32 v17, v39, v17
	v_sub_f16_e32 v16, v8, v20
	;; [unrolled: 2-line block ×3, first 2 shown]
	v_add_f16_e32 v7, v18, v7
	ds_store_b16 v34, v12 offset:3024
	ds_store_b16 v34, v17 offset:3132
	;; [unrolled: 1-line block ×7, first 2 shown]
.LBB0_23:
	s_wait_alu 0xfffe
	s_or_b32 exec_lo, exec_lo, s1
	v_add_f16_e32 v7, v53, v50
	v_add_f16_e32 v8, v51, v52
	;; [unrolled: 1-line block ×3, first 2 shown]
	v_sub_f16_e32 v16, v58, v62
	v_sub_f16_e32 v17, v61, v60
	;; [unrolled: 1-line block ×3, first 2 shown]
	v_add_f16_e32 v18, v8, v7
	v_sub_f16_e32 v19, v8, v7
	v_sub_f16_e32 v7, v7, v15
	;; [unrolled: 1-line block ×3, first 2 shown]
	v_add_f16_e32 v20, v17, v16
	v_add_f16_e32 v15, v15, v18
	v_sub_f16_e32 v18, v17, v16
	v_sub_f16_e32 v16, v16, v12
	v_sub_f16_e32 v17, v12, v17
	v_add_f16_e32 v12, v20, v12
	v_add_f16_e32 v38, v14, v15
	v_mul_f16_e32 v14, 0x2b26, v8
	v_mul_f16_e32 v18, 0x3846, v18
	;; [unrolled: 1-line block ×4, first 2 shown]
	v_fmamk_f16 v15, v15, 0xbcab, v38
	v_fma_f16 v14, v19, 0x39e0, -v14
	v_fma_f16 v16, v16, 0xbb00, -v18
	v_fmamk_f16 v8, v8, 0x2b26, v7
	v_fma_f16 v7, v19, 0xb9e0, -v7
	v_fmamk_f16 v19, v17, 0xb574, v18
	v_fma_f16 v17, v17, 0x3574, -v20
	v_add_f16_e32 v14, v14, v15
	v_fmac_f16_e32 v16, 0xb70e, v12
	v_add_f16_e32 v8, v8, v15
	v_fmac_f16_e32 v19, 0xb70e, v12
	v_fmac_f16_e32 v17, 0xb70e, v12
	v_add_f16_e32 v12, v44, v43
	v_add_f16_e32 v41, v16, v14
	v_sub_f16_e32 v47, v14, v16
	v_add_f16_e32 v14, v45, v46
	v_add_f16_e32 v7, v7, v15
	v_sub_f16_e32 v10, v10, v57
	v_add_f16_e32 v15, v22, v42
	v_sub_f16_e32 v9, v9, v56
	v_sub_f16_e32 v16, v55, v54
	v_add_f16_e32 v18, v14, v12
	v_sub_f16_e32 v20, v14, v12
	v_sub_f16_e32 v12, v12, v15
	;; [unrolled: 1-line block ×3, first 2 shown]
	v_add_f16_e32 v21, v16, v9
	v_add_f16_e32 v15, v15, v18
	v_sub_f16_e32 v18, v16, v9
	v_sub_f16_e32 v9, v9, v10
	v_sub_f16_e32 v16, v10, v16
	v_add_f16_e32 v10, v21, v10
	v_add_f16_e32 v42, v13, v15
	v_mul_f16_e32 v12, 0x3a52, v12
	v_mul_f16_e32 v13, 0x2b26, v14
	;; [unrolled: 1-line block ×4, first 2 shown]
	v_fmamk_f16 v15, v15, 0xbcab, v42
	v_fmamk_f16 v14, v14, 0x2b26, v12
	v_fma_f16 v13, v20, 0x39e0, -v13
	v_fma_f16 v12, v20, 0xb9e0, -v12
	v_fmamk_f16 v43, v16, 0xb574, v18
	v_fma_f16 v9, v9, 0xbb00, -v18
	v_fma_f16 v16, v16, 0x3574, -v21
	v_add_f16_e32 v13, v13, v15
	v_add_f16_e32 v12, v12, v15
	v_sub_f16_e32 v39, v8, v19
	v_fmac_f16_e32 v9, 0xb70e, v10
	v_fmac_f16_e32 v16, 0xb70e, v10
	v_sub_f16_e32 v40, v7, v17
	v_add_f16_e32 v44, v14, v15
	v_fmac_f16_e32 v43, 0xb70e, v10
	v_add_f16_e32 v45, v17, v7
	v_add_f16_e32 v46, v19, v8
	v_sub_f16_e32 v49, v12, v16
	v_add_f16_e32 v50, v9, v13
	v_sub_f16_e32 v51, v13, v9
	v_add_f16_e32 v52, v16, v12
	global_wb scope:SCOPE_SE
	s_wait_dscnt 0x0
	s_barrier_signal -1
	s_barrier_wait -1
	global_inv scope:SCOPE_SE
	ds_load_u16 v7, v4
	ds_load_u16 v8, v4 offset:252
	ds_load_u16 v17, v4 offset:1008
	;; [unrolled: 1-line block ×14, first 2 shown]
	v_sub_f16_e32 v48, v44, v43
	v_add_f16_e32 v43, v43, v44
	global_wb scope:SCOPE_SE
	s_wait_dscnt 0x0
	s_barrier_signal -1
	s_barrier_wait -1
	global_inv scope:SCOPE_SE
	ds_store_b16 v36, v38
	ds_store_b16 v36, v39 offset:108
	ds_store_b16 v36, v40 offset:216
	;; [unrolled: 1-line block ×6, first 2 shown]
	ds_store_b16 v35, v42
	ds_store_b16 v35, v48 offset:108
	ds_store_b16 v35, v49 offset:216
	;; [unrolled: 1-line block ×6, first 2 shown]
	s_and_saveexec_b32 s1, s0
	s_cbranch_execz .LBB0_25
; %bb.24:
	v_add_f16_e32 v30, v30, v37
	v_add_f16_e32 v31, v31, v33
	v_sub_f16_e32 v24, v24, v28
	v_add_f16_e32 v28, v29, v32
	v_sub_f16_e32 v23, v23, v27
	v_sub_f16_e32 v25, v26, v25
	v_add_f16_e32 v26, v31, v30
	v_sub_f16_e32 v27, v31, v30
	v_sub_f16_e32 v29, v30, v28
	;; [unrolled: 1-line block ×3, first 2 shown]
	v_add_f16_e32 v31, v25, v23
	v_add_f16_e32 v26, v28, v26
	v_sub_f16_e32 v28, v25, v23
	v_sub_f16_e32 v23, v23, v24
	;; [unrolled: 1-line block ×3, first 2 shown]
	v_add_f16_e32 v24, v31, v24
	v_add_f16_e32 v11, v11, v26
	v_mul_f16_e32 v29, 0x3a52, v29
	v_mul_f16_e32 v31, 0x2b26, v30
	v_mul_f16_e32 v28, 0x3846, v28
	v_mul_f16_e32 v32, 0xbb00, v23
	v_fmamk_f16 v26, v26, 0xbcab, v11
	v_fmamk_f16 v30, v30, 0x2b26, v29
	v_fma_f16 v31, v27, 0x39e0, -v31
	v_fma_f16 v27, v27, 0xb9e0, -v29
	v_fmamk_f16 v29, v25, 0xb574, v28
	v_fma_f16 v25, v25, 0x3574, -v32
	v_fma_f16 v23, v23, 0xbb00, -v28
	v_add_f16_e32 v28, v30, v26
	v_add_f16_e32 v30, v31, v26
	v_fmac_f16_e32 v29, 0xb70e, v24
	v_add_f16_e32 v26, v27, v26
	v_fmac_f16_e32 v25, 0xb70e, v24
	v_fmac_f16_e32 v23, 0xb70e, v24
	s_delay_alu instid0(VALU_DEP_4) | instskip(NEXT) | instid1(VALU_DEP_3)
	v_sub_f16_e32 v24, v28, v29
	v_sub_f16_e32 v27, v26, v25
	s_delay_alu instid0(VALU_DEP_3)
	v_add_f16_e32 v31, v23, v30
	v_sub_f16_e32 v23, v30, v23
	v_add_f16_e32 v25, v25, v26
	v_add_f16_e32 v26, v29, v28
	ds_store_b16 v34, v11 offset:3024
	ds_store_b16 v34, v24 offset:3132
	;; [unrolled: 1-line block ×7, first 2 shown]
.LBB0_25:
	s_wait_alu 0xfffe
	s_or_b32 exec_lo, exec_lo, s1
	global_wb scope:SCOPE_SE
	s_wait_dscnt 0x0
	s_barrier_signal -1
	s_barrier_wait -1
	global_inv scope:SCOPE_SE
	s_and_saveexec_b32 s0, vcc_lo
	s_cbranch_execz .LBB0_27
; %bb.26:
	v_dual_mov_b32 v36, 0 :: v_dual_lshlrev_b32 v35, 2, v6
	s_delay_alu instid0(VALU_DEP_1) | instskip(SKIP_1) | instid1(VALU_DEP_1)
	v_lshlrev_b64_e32 v[23:24], 2, v[35:36]
	v_lshlrev_b32_e32 v35, 2, v5
	v_lshlrev_b64_e32 v[5:6], 2, v[35:36]
	s_delay_alu instid0(VALU_DEP_3) | instskip(SKIP_1) | instid1(VALU_DEP_4)
	v_add_co_u32 v23, vcc_lo, s4, v23
	s_wait_alu 0xfffd
	v_add_co_ci_u32_e32 v24, vcc_lo, s5, v24, vcc_lo
	v_lshlrev_b32_e32 v35, 2, v0
	s_delay_alu instid0(VALU_DEP_4)
	v_add_co_u32 v5, vcc_lo, s4, v5
	s_wait_alu 0xfffd
	v_add_co_ci_u32_e32 v6, vcc_lo, s5, v6, vcc_lo
	s_clause 0x1
	global_load_b128 v[23:26], v[23:24], off offset:1504
	global_load_b128 v[27:30], v[5:6], off offset:1504
	v_lshlrev_b64_e32 v[5:6], 2, v[35:36]
	v_mul_hi_u32 v35, 0xad602b59, v1
	v_mov_b32_e32 v1, v36
	s_delay_alu instid0(VALU_DEP_3) | instskip(SKIP_1) | instid1(VALU_DEP_4)
	v_add_co_u32 v5, vcc_lo, s4, v5
	s_wait_alu 0xfffd
	v_add_co_ci_u32_e32 v6, vcc_lo, s5, v6, vcc_lo
	s_delay_alu instid0(VALU_DEP_4)
	v_lshrrev_b32_e32 v35, 7, v35
	v_lshlrev_b64_e32 v[0:1], 2, v[0:1]
	v_add_co_u32 v2, vcc_lo, s8, v2
	global_load_b128 v[31:34], v[5:6], off offset:1504
	ds_load_u16 v5, v4 offset:2016
	ds_load_u16 v6, v4 offset:1764
	ds_load_u16 v11, v4 offset:1512
	ds_load_u16 v37, v4 offset:1260
	ds_load_u16 v38, v4 offset:1008
	ds_load_u16 v39, v4 offset:756
	ds_load_u16 v40, v4 offset:3528
	ds_load_u16 v41, v4 offset:3276
	ds_load_u16 v42, v4 offset:3024
	ds_load_u16 v43, v4 offset:2772
	ds_load_u16 v44, v4 offset:2520
	ds_load_u16 v45, v4 offset:2268
	s_wait_alu 0xfffd
	v_add_co_ci_u32_e32 v3, vcc_lo, s9, v3, vcc_lo
	v_mul_u32_u24_e32 v35, 0x5e8, v35
	v_add_co_u32 v0, vcc_lo, v2, v0
	ds_load_u16 v46, v4 offset:504
	ds_load_u16 v47, v4 offset:252
	ds_load_u16 v4, v4
	s_wait_alu 0xfffd
	v_add_co_ci_u32_e32 v1, vcc_lo, v3, v1, vcc_lo
	v_lshlrev_b64_e32 v[2:3], 2, v[35:36]
	s_delay_alu instid0(VALU_DEP_1) | instskip(SKIP_1) | instid1(VALU_DEP_2)
	v_add_co_u32 v2, vcc_lo, v0, v2
	s_wait_alu 0xfffd
	v_add_co_ci_u32_e32 v3, vcc_lo, v1, v3, vcc_lo
	s_wait_loadcnt 0x2
	v_lshrrev_b32_e32 v35, 16, v23
	v_lshrrev_b32_e32 v36, 16, v24
	;; [unrolled: 1-line block ×4, first 2 shown]
	s_wait_loadcnt 0x1
	v_lshrrev_b32_e32 v54, 16, v27
	v_mul_f16_e32 v50, v19, v35
	v_mul_f16_e32 v51, v22, v36
	;; [unrolled: 1-line block ×4, first 2 shown]
	s_wait_dscnt 0xb
	v_mul_f16_e32 v35, v37, v35
	s_wait_dscnt 0x8
	v_mul_f16_e32 v49, v40, v49
	v_mul_f16_e32 v36, v5, v36
	s_wait_dscnt 0x5
	v_mul_f16_e32 v48, v43, v48
	v_lshrrev_b32_e32 v55, 16, v28
	v_lshrrev_b32_e32 v56, 16, v29
	;; [unrolled: 1-line block ×3, first 2 shown]
	v_fma_f16 v37, v23, v37, -v50
	v_fma_f16 v5, v24, v5, -v51
	v_fma_f16 v40, v26, v40, -v52
	v_fma_f16 v43, v25, v43, -v53
	v_fmac_f16_e32 v35, v19, v23
	v_fmac_f16_e32 v49, v21, v26
	;; [unrolled: 1-line block ×4, first 2 shown]
	v_mul_f16_e32 v19, v17, v54
	v_mul_f16_e32 v20, v15, v55
	;; [unrolled: 1-line block ×7, first 2 shown]
	s_wait_dscnt 0x4
	v_mul_f16_e32 v26, v44, v56
	s_wait_loadcnt 0x0
	v_lshrrev_b32_e32 v50, 16, v31
	v_lshrrev_b32_e32 v51, 16, v32
	;; [unrolled: 1-line block ×4, first 2 shown]
	v_sub_f16_e32 v54, v37, v5
	v_sub_f16_e32 v55, v40, v43
	v_add_f16_e32 v56, v5, v43
	v_sub_f16_e32 v57, v35, v49
	v_sub_f16_e32 v59, v35, v36
	;; [unrolled: 1-line block ×3, first 2 shown]
	v_add_f16_e32 v61, v36, v48
	v_sub_f16_e32 v64, v5, v37
	v_sub_f16_e32 v65, v43, v40
	v_add_f16_e32 v66, v37, v40
	v_sub_f16_e32 v67, v36, v35
	v_sub_f16_e32 v68, v48, v49
	v_add_f16_e32 v69, v35, v49
	v_add_f16_e32 v35, v14, v35
	v_fma_f16 v19, v27, v38, -v19
	v_fma_f16 v6, v28, v6, -v20
	v_fma_f16 v20, v30, v41, -v21
	v_fma_f16 v21, v29, v44, -v22
	v_fmac_f16_e32 v23, v17, v27
	v_fmac_f16_e32 v24, v18, v30
	;; [unrolled: 1-line block ×4, first 2 shown]
	v_mul_f16_e32 v15, v10, v50
	v_mul_f16_e32 v16, v9, v51
	;; [unrolled: 1-line block ×5, first 2 shown]
	s_wait_dscnt 0x3
	v_mul_f16_e32 v29, v45, v52
	v_sub_f16_e32 v62, v37, v40
	s_wait_dscnt 0x2
	v_add_f16_e32 v37, v37, v46
	v_mul_f16_e32 v22, v39, v50
	v_mul_f16_e32 v27, v42, v53
	v_sub_f16_e32 v58, v36, v48
	v_add_f16_e32 v30, v54, v55
	v_fma_f16 v38, -0.5, v56, v46
	v_add_f16_e32 v41, v59, v60
	v_fma_f16 v44, -0.5, v61, v14
	;; [unrolled: 2-line block ×4, first 2 shown]
	v_add_f16_e32 v35, v35, v36
	v_sub_f16_e32 v36, v19, v6
	v_sub_f16_e32 v53, v23, v24
	;; [unrolled: 1-line block ×5, first 2 shown]
	v_add_f16_e32 v66, v19, v20
	v_sub_f16_e32 v67, v25, v23
	v_add_f16_e32 v69, v23, v24
	s_wait_dscnt 0x1
	v_add_f16_e32 v19, v19, v47
	v_add_f16_e32 v23, v8, v23
	v_fma_f16 v15, v39, v31, -v15
	v_fma_f16 v11, v32, v11, -v16
	;; [unrolled: 1-line block ×4, first 2 shown]
	v_fmac_f16_e32 v28, v9, v32
	v_fmac_f16_e32 v29, v12, v33
	v_sub_f16_e32 v63, v5, v43
	v_add_f16_e32 v5, v5, v37
	v_sub_f16_e32 v37, v20, v21
	v_sub_f16_e32 v65, v21, v20
	;; [unrolled: 1-line block ×3, first 2 shown]
	v_fmac_f16_e32 v22, v10, v31
	v_fmac_f16_e32 v27, v13, v34
	v_add_f16_e32 v52, v6, v21
	v_sub_f16_e32 v54, v25, v26
	v_sub_f16_e32 v56, v24, v26
	v_add_f16_e32 v59, v25, v26
	v_sub_f16_e32 v61, v6, v21
	v_add_f16_e32 v18, v35, v48
	v_add_f16_e32 v6, v6, v19
	;; [unrolled: 1-line block ×3, first 2 shown]
	v_sub_f16_e32 v23, v15, v11
	v_sub_f16_e32 v25, v16, v17
	v_add_f16_e32 v39, v11, v17
	v_add_f16_e32 v48, v28, v29
	;; [unrolled: 1-line block ×7, first 2 shown]
	v_fma_f16 v32, -0.5, v52, v47
	v_add_f16_e32 v33, v55, v56
	v_sub_f16_e32 v42, v22, v27
	v_sub_f16_e32 v45, v22, v28
	;; [unrolled: 1-line block ×5, first 2 shown]
	s_wait_dscnt 0x0
	v_add_f16_e32 v15, v15, v4
	v_add_f16_e32 v22, v7, v22
	;; [unrolled: 1-line block ×5, first 2 shown]
	v_fma_f16 v23, -0.5, v39, v4
	v_fma_f16 v26, -0.5, v48, v7
	v_add_f16_e32 v5, v43, v5
	v_sub_f16_e32 v43, v28, v29
	v_sub_f16_e32 v55, v11, v17
	v_fma_f16 v4, -0.5, v64, v4
	v_fma_f16 v7, -0.5, v67, v7
	;; [unrolled: 1-line block ×3, first 2 shown]
	v_fmamk_f16 v9, v57, 0xbb9c, v38
	v_fmamk_f16 v12, v58, 0x3b9c, v46
	v_fmac_f16_e32 v46, 0xbb9c, v58
	v_fmac_f16_e32 v38, 0x3b9c, v57
	v_fma_f16 v36, -0.5, v66, v47
	v_fma_f16 v8, -0.5, v69, v8
	v_fmamk_f16 v10, v62, 0x3b9c, v44
	v_sub_f16_e32 v47, v27, v29
	v_add_f16_e32 v11, v11, v15
	v_add_f16_e32 v15, v22, v28
	;; [unrolled: 1-line block ×3, first 2 shown]
	v_fmamk_f16 v20, v42, 0xbb9c, v23
	v_fmamk_f16 v22, v52, 0x3b9c, v26
	v_fmac_f16_e32 v23, 0x3b9c, v42
	v_fmac_f16_e32 v26, 0xbb9c, v52
	v_sub_f16_e32 v59, v17, v16
	v_sub_f16_e32 v66, v29, v27
	v_add_f16_e32 v19, v24, v19
	v_fmamk_f16 v24, v43, 0x3b9c, v4
	v_fmamk_f16 v28, v55, 0xbb9c, v7
	v_fmac_f16_e32 v4, 0xbb9c, v43
	v_fmac_f16_e32 v7, 0x3b9c, v55
	v_add_f16_e32 v5, v40, v5
	v_add_f16_e32 v18, v49, v18
	v_fmamk_f16 v40, v53, 0xbb9c, v32
	v_fmamk_f16 v49, v60, 0x3b9c, v34
	v_fmac_f16_e32 v32, 0x3b9c, v53
	v_fmac_f16_e32 v34, 0xbb9c, v60
	;; [unrolled: 1-line block ×6, first 2 shown]
	v_fmamk_f16 v57, v54, 0x3b9c, v36
	v_fmamk_f16 v58, v61, 0xbb9c, v8
	v_fmac_f16_e32 v36, 0xbb9c, v54
	v_fmac_f16_e32 v8, 0x3b9c, v61
	v_fmamk_f16 v13, v63, 0xbb9c, v14
	v_fmac_f16_e32 v14, 0x3b9c, v63
	v_fmac_f16_e32 v44, 0xbb9c, v62
	;; [unrolled: 1-line block ×3, first 2 shown]
	v_add_f16_e32 v25, v45, v47
	v_add_f16_e32 v11, v17, v11
	;; [unrolled: 1-line block ×3, first 2 shown]
	v_fmac_f16_e32 v23, 0x38b4, v43
	v_fmac_f16_e32 v26, 0xb8b4, v55
	v_add_f16_e32 v39, v56, v59
	v_add_f16_e32 v45, v65, v66
	v_fmac_f16_e32 v4, 0x38b4, v42
	v_fmac_f16_e32 v7, 0xb8b4, v52
	;; [unrolled: 1-line block ×19, first 2 shown]
	v_add_f16_e32 v11, v16, v11
	v_add_f16_e32 v15, v27, v15
	v_fmac_f16_e32 v23, 0x34f2, v21
	v_fmac_f16_e32 v26, 0x34f2, v25
	;; [unrolled: 1-line block ×18, first 2 shown]
	v_pack_b32_f16 v9, v10, v9
	v_fmac_f16_e32 v20, 0x34f2, v21
	v_fmac_f16_e32 v22, 0x34f2, v25
	;; [unrolled: 1-line block ×4, first 2 shown]
	v_pack_b32_f16 v10, v15, v11
	v_pack_b32_f16 v17, v26, v23
	v_pack_b32_f16 v6, v19, v6
	v_pack_b32_f16 v4, v7, v4
	v_pack_b32_f16 v11, v34, v32
	v_pack_b32_f16 v8, v8, v36
	v_pack_b32_f16 v5, v18, v5
	v_pack_b32_f16 v16, v44, v38
	v_pack_b32_f16 v14, v14, v46
	v_pack_b32_f16 v12, v13, v12
	v_pack_b32_f16 v13, v58, v57
	v_pack_b32_f16 v15, v49, v40
	global_store_b32 v[0:1], v10, off
	v_pack_b32_f16 v7, v28, v24
	v_pack_b32_f16 v10, v22, v20
	s_clause 0xd
	global_store_b32 v[0:1], v17, off offset:1512
	global_store_b32 v[0:1], v6, off offset:504
	;; [unrolled: 1-line block ×14, first 2 shown]
.LBB0_27:
	s_nop 0
	s_sendmsg sendmsg(MSG_DEALLOC_VGPRS)
	s_endpgm
	.section	.rodata,"a",@progbits
	.p2align	6, 0x0
	.amdhsa_kernel fft_rtc_back_len1890_factors_2_3_3_3_7_5_wgs_126_tpt_126_halfLds_half_ip_CI_unitstride_sbrr_dirReg
		.amdhsa_group_segment_fixed_size 0
		.amdhsa_private_segment_fixed_size 0
		.amdhsa_kernarg_size 88
		.amdhsa_user_sgpr_count 2
		.amdhsa_user_sgpr_dispatch_ptr 0
		.amdhsa_user_sgpr_queue_ptr 0
		.amdhsa_user_sgpr_kernarg_segment_ptr 1
		.amdhsa_user_sgpr_dispatch_id 0
		.amdhsa_user_sgpr_private_segment_size 0
		.amdhsa_wavefront_size32 1
		.amdhsa_uses_dynamic_stack 0
		.amdhsa_enable_private_segment 0
		.amdhsa_system_sgpr_workgroup_id_x 1
		.amdhsa_system_sgpr_workgroup_id_y 0
		.amdhsa_system_sgpr_workgroup_id_z 0
		.amdhsa_system_sgpr_workgroup_info 0
		.amdhsa_system_vgpr_workitem_id 0
		.amdhsa_next_free_vgpr 94
		.amdhsa_next_free_sgpr 32
		.amdhsa_reserve_vcc 1
		.amdhsa_float_round_mode_32 0
		.amdhsa_float_round_mode_16_64 0
		.amdhsa_float_denorm_mode_32 3
		.amdhsa_float_denorm_mode_16_64 3
		.amdhsa_fp16_overflow 0
		.amdhsa_workgroup_processor_mode 1
		.amdhsa_memory_ordered 1
		.amdhsa_forward_progress 0
		.amdhsa_round_robin_scheduling 0
		.amdhsa_exception_fp_ieee_invalid_op 0
		.amdhsa_exception_fp_denorm_src 0
		.amdhsa_exception_fp_ieee_div_zero 0
		.amdhsa_exception_fp_ieee_overflow 0
		.amdhsa_exception_fp_ieee_underflow 0
		.amdhsa_exception_fp_ieee_inexact 0
		.amdhsa_exception_int_div_zero 0
	.end_amdhsa_kernel
	.text
.Lfunc_end0:
	.size	fft_rtc_back_len1890_factors_2_3_3_3_7_5_wgs_126_tpt_126_halfLds_half_ip_CI_unitstride_sbrr_dirReg, .Lfunc_end0-fft_rtc_back_len1890_factors_2_3_3_3_7_5_wgs_126_tpt_126_halfLds_half_ip_CI_unitstride_sbrr_dirReg
                                        ; -- End function
	.section	.AMDGPU.csdata,"",@progbits
; Kernel info:
; codeLenInByte = 12188
; NumSgprs: 34
; NumVgprs: 94
; ScratchSize: 0
; MemoryBound: 0
; FloatMode: 240
; IeeeMode: 1
; LDSByteSize: 0 bytes/workgroup (compile time only)
; SGPRBlocks: 4
; VGPRBlocks: 11
; NumSGPRsForWavesPerEU: 34
; NumVGPRsForWavesPerEU: 94
; Occupancy: 16
; WaveLimiterHint : 1
; COMPUTE_PGM_RSRC2:SCRATCH_EN: 0
; COMPUTE_PGM_RSRC2:USER_SGPR: 2
; COMPUTE_PGM_RSRC2:TRAP_HANDLER: 0
; COMPUTE_PGM_RSRC2:TGID_X_EN: 1
; COMPUTE_PGM_RSRC2:TGID_Y_EN: 0
; COMPUTE_PGM_RSRC2:TGID_Z_EN: 0
; COMPUTE_PGM_RSRC2:TIDIG_COMP_CNT: 0
	.text
	.p2alignl 7, 3214868480
	.fill 96, 4, 3214868480
	.type	__hip_cuid_b67c7a23109ea173,@object ; @__hip_cuid_b67c7a23109ea173
	.section	.bss,"aw",@nobits
	.globl	__hip_cuid_b67c7a23109ea173
__hip_cuid_b67c7a23109ea173:
	.byte	0                               ; 0x0
	.size	__hip_cuid_b67c7a23109ea173, 1

	.ident	"AMD clang version 19.0.0git (https://github.com/RadeonOpenCompute/llvm-project roc-6.4.0 25133 c7fe45cf4b819c5991fe208aaa96edf142730f1d)"
	.section	".note.GNU-stack","",@progbits
	.addrsig
	.addrsig_sym __hip_cuid_b67c7a23109ea173
	.amdgpu_metadata
---
amdhsa.kernels:
  - .args:
      - .actual_access:  read_only
        .address_space:  global
        .offset:         0
        .size:           8
        .value_kind:     global_buffer
      - .offset:         8
        .size:           8
        .value_kind:     by_value
      - .actual_access:  read_only
        .address_space:  global
        .offset:         16
        .size:           8
        .value_kind:     global_buffer
      - .actual_access:  read_only
        .address_space:  global
        .offset:         24
        .size:           8
        .value_kind:     global_buffer
      - .offset:         32
        .size:           8
        .value_kind:     by_value
      - .actual_access:  read_only
        .address_space:  global
        .offset:         40
        .size:           8
        .value_kind:     global_buffer
      - .actual_access:  read_only
        .address_space:  global
        .offset:         48
        .size:           8
        .value_kind:     global_buffer
      - .offset:         56
        .size:           4
        .value_kind:     by_value
      - .actual_access:  read_only
        .address_space:  global
        .offset:         64
        .size:           8
        .value_kind:     global_buffer
      - .actual_access:  read_only
        .address_space:  global
        .offset:         72
        .size:           8
        .value_kind:     global_buffer
      - .address_space:  global
        .offset:         80
        .size:           8
        .value_kind:     global_buffer
    .group_segment_fixed_size: 0
    .kernarg_segment_align: 8
    .kernarg_segment_size: 88
    .language:       OpenCL C
    .language_version:
      - 2
      - 0
    .max_flat_workgroup_size: 126
    .name:           fft_rtc_back_len1890_factors_2_3_3_3_7_5_wgs_126_tpt_126_halfLds_half_ip_CI_unitstride_sbrr_dirReg
    .private_segment_fixed_size: 0
    .sgpr_count:     34
    .sgpr_spill_count: 0
    .symbol:         fft_rtc_back_len1890_factors_2_3_3_3_7_5_wgs_126_tpt_126_halfLds_half_ip_CI_unitstride_sbrr_dirReg.kd
    .uniform_work_group_size: 1
    .uses_dynamic_stack: false
    .vgpr_count:     94
    .vgpr_spill_count: 0
    .wavefront_size: 32
    .workgroup_processor_mode: 1
amdhsa.target:   amdgcn-amd-amdhsa--gfx1201
amdhsa.version:
  - 1
  - 2
...

	.end_amdgpu_metadata
